;; amdgpu-corpus repo=ROCm/rocFFT kind=compiled arch=gfx1030 opt=O3
	.text
	.amdgcn_target "amdgcn-amd-amdhsa--gfx1030"
	.amdhsa_code_object_version 6
	.protected	fft_rtc_back_len280_factors_8_5_7_wgs_392_tpt_56_dp_op_CI_CI_sbcc_twdbase6_3step ; -- Begin function fft_rtc_back_len280_factors_8_5_7_wgs_392_tpt_56_dp_op_CI_CI_sbcc_twdbase6_3step
	.globl	fft_rtc_back_len280_factors_8_5_7_wgs_392_tpt_56_dp_op_CI_CI_sbcc_twdbase6_3step
	.p2align	8
	.type	fft_rtc_back_len280_factors_8_5_7_wgs_392_tpt_56_dp_op_CI_CI_sbcc_twdbase6_3step,@function
fft_rtc_back_len280_factors_8_5_7_wgs_392_tpt_56_dp_op_CI_CI_sbcc_twdbase6_3step: ; @fft_rtc_back_len280_factors_8_5_7_wgs_392_tpt_56_dp_op_CI_CI_sbcc_twdbase6_3step
; %bb.0:
	s_clause 0x1
	s_load_dwordx8 s[8:15], s[4:5], 0x8
	s_load_dwordx2 s[26:27], s[4:5], 0x28
	s_mov_b32 s0, exec_lo
	v_cmpx_gt_u32_e32 0xc0, v0
	s_cbranch_execz .LBB0_2
; %bb.1:
	v_lshlrev_b32_e32 v5, 4, v0
	s_waitcnt lgkmcnt(0)
	global_load_dwordx4 v[1:4], v5, s[8:9]
	v_add3_u32 v5, 0, v5, 0x7a80
	s_waitcnt vmcnt(0)
	ds_write2_b64 v5, v[1:2], v[3:4] offset1:1
.LBB0_2:
	s_or_b32 exec_lo, exec_lo, s0
	s_waitcnt lgkmcnt(0)
	s_load_dwordx2 s[28:29], s[12:13], 0x8
	s_waitcnt lgkmcnt(0)
	s_add_u32 s0, s28, -1
	s_addc_u32 s1, s29, -1
	s_add_u32 s2, 0, 0x92481000
	s_addc_u32 s3, 0, 0x64
	s_mul_hi_u32 s8, s2, -7
	s_add_i32 s3, s3, 0x249248c0
	s_sub_i32 s8, s8, s2
	s_mul_i32 s16, s3, -7
	s_mul_i32 s7, s2, -7
	s_add_i32 s8, s8, s16
	s_mul_hi_u32 s9, s2, s7
	s_mul_i32 s18, s2, s8
	s_mul_hi_u32 s16, s2, s8
	s_mul_hi_u32 s17, s3, s7
	s_mul_i32 s7, s3, s7
	s_add_u32 s9, s9, s18
	s_addc_u32 s16, 0, s16
	s_mul_hi_u32 s19, s3, s8
	s_add_u32 s7, s9, s7
	s_mul_i32 s8, s3, s8
	s_addc_u32 s7, s16, s17
	s_addc_u32 s9, s19, 0
	s_add_u32 s7, s7, s8
	v_add_co_u32 v1, s2, s2, s7
	s_addc_u32 s7, 0, s9
	s_cmp_lg_u32 s2, 0
	s_addc_u32 s2, s3, s7
	v_readfirstlane_b32 s3, v1
	s_mul_i32 s8, s0, s2
	s_mul_hi_u32 s7, s0, s2
	s_mul_hi_u32 s9, s1, s2
	s_mul_i32 s2, s1, s2
	s_mul_hi_u32 s16, s0, s3
	s_mul_hi_u32 s17, s1, s3
	s_mul_i32 s3, s1, s3
	s_add_u32 s8, s16, s8
	s_addc_u32 s7, 0, s7
	s_add_u32 s3, s8, s3
	s_addc_u32 s3, s7, s17
	s_addc_u32 s7, s9, 0
	s_add_u32 s2, s3, s2
	s_addc_u32 s3, 0, s7
	s_mul_i32 s8, s2, 7
	s_add_u32 s7, s2, 1
	v_sub_co_u32 v1, s0, s0, s8
	s_mul_hi_u32 s8, s2, 7
	s_addc_u32 s9, s3, 0
	s_mul_i32 s16, s3, 7
	v_sub_co_u32 v2, s17, v1, 7
	s_add_u32 s18, s2, 2
	s_addc_u32 s19, s3, 0
	s_add_i32 s8, s8, s16
	s_cmp_lg_u32 s0, 0
	v_readfirstlane_b32 s0, v2
	s_subb_u32 s1, s1, s8
	s_cmp_lg_u32 s17, 0
	s_subb_u32 s8, s1, 0
	s_cmp_gt_u32 s0, 6
	s_cselect_b32 s0, -1, 0
	s_cmp_eq_u32 s8, 0
	v_readfirstlane_b32 s8, v1
	s_cselect_b32 s0, s0, -1
	s_cmp_lg_u32 s0, 0
	s_cselect_b32 s0, s18, s7
	s_cselect_b32 s9, s19, s9
	s_cmp_gt_u32 s8, 6
	s_cselect_b32 s7, -1, 0
	s_cmp_eq_u32 s1, 0
	s_cselect_b32 s1, s7, -1
	s_mov_b32 s7, 0
	s_cmp_lg_u32 s1, 0
	s_cselect_b32 s0, s0, s2
	s_cselect_b32 s1, s9, s3
	s_add_u32 s34, s0, 1
	s_addc_u32 s35, s1, 0
	s_mov_b64 s[8:9], 0
	v_cmp_lt_u64_e64 s0, s[6:7], s[34:35]
	s_and_b32 vcc_lo, exec_lo, s0
	s_cbranch_vccnz .LBB0_4
; %bb.3:
	v_cvt_f32_u32_e32 v1, s34
	s_sub_i32 s1, 0, s34
	s_mov_b32 s9, s7
	v_rcp_iflag_f32_e32 v1, v1
	v_mul_f32_e32 v1, 0x4f7ffffe, v1
	v_cvt_u32_f32_e32 v1, v1
	v_readfirstlane_b32 s0, v1
	s_mul_i32 s1, s1, s0
	s_mul_hi_u32 s1, s0, s1
	s_add_i32 s0, s0, s1
	s_mul_hi_u32 s0, s6, s0
	s_mul_i32 s1, s0, s34
	s_add_i32 s2, s0, 1
	s_sub_i32 s1, s6, s1
	s_sub_i32 s3, s1, s34
	s_cmp_ge_u32 s1, s34
	s_cselect_b32 s0, s2, s0
	s_cselect_b32 s1, s3, s1
	s_add_i32 s2, s0, 1
	s_cmp_ge_u32 s1, s34
	s_cselect_b32 s8, s2, s0
.LBB0_4:
	s_load_dwordx4 s[20:23], s[14:15], 0x0
	s_load_dwordx4 s[0:3], s[26:27], 0x0
	s_clause 0x1
	s_load_dwordx4 s[16:19], s[4:5], 0x60
	s_load_dwordx2 s[24:25], s[4:5], 0x0
	s_mul_i32 s4, s8, s35
	s_mul_hi_u32 s5, s8, s34
	s_mul_i32 s30, s8, s34
	s_add_i32 s5, s5, s4
	s_sub_u32 s48, s6, s30
	s_subb_u32 s4, 0, s5
	s_mul_hi_u32 s33, s48, 7
	s_mul_i32 s4, s4, 7
	v_cmp_lt_u64_e64 s36, s[10:11], 3
	s_add_i32 s33, s33, s4
	s_mul_i32 s48, s48, 7
	s_and_b32 vcc_lo, exec_lo, s36
	s_waitcnt lgkmcnt(0)
	s_mul_i32 s4, s22, s33
	s_mul_hi_u32 s5, s22, s48
	s_mul_i32 s37, s2, s33
	s_mul_hi_u32 s38, s2, s48
	s_mul_i32 s31, s23, s48
	s_mul_i32 s39, s3, s48
	s_add_i32 s4, s5, s4
	s_add_i32 s5, s38, s37
	s_mul_i32 s30, s22, s48
	s_add_i32 s31, s4, s31
	s_add_i32 s5, s5, s39
	s_mul_i32 s4, s2, s48
	s_cbranch_vccnz .LBB0_14
; %bb.5:
	s_add_u32 s36, s26, 16
	s_addc_u32 s37, s27, 0
	s_add_u32 s38, s14, 16
	s_addc_u32 s39, s15, 0
	;; [unrolled: 2-line block ×3, first 2 shown]
	s_mov_b64 s[40:41], 2
	s_mov_b32 s42, 0
.LBB0_6:                                ; =>This Inner Loop Header: Depth=1
	s_load_dwordx2 s[44:45], s[12:13], 0x0
	s_waitcnt lgkmcnt(0)
	s_or_b64 s[46:47], s[8:9], s[44:45]
	s_mov_b32 s43, s47
                                        ; implicit-def: $sgpr46_sgpr47
	s_cmp_lg_u64 s[42:43], 0
	s_mov_b32 s43, -1
	s_cbranch_scc0 .LBB0_8
; %bb.7:                                ;   in Loop: Header=BB0_6 Depth=1
	v_cvt_f32_u32_e32 v1, s44
	v_cvt_f32_u32_e32 v2, s45
	s_sub_u32 s47, 0, s44
	s_subb_u32 s49, 0, s45
	v_fmac_f32_e32 v1, 0x4f800000, v2
	v_rcp_f32_e32 v1, v1
	v_mul_f32_e32 v1, 0x5f7ffffc, v1
	v_mul_f32_e32 v2, 0x2f800000, v1
	v_trunc_f32_e32 v2, v2
	v_fmac_f32_e32 v1, 0xcf800000, v2
	v_cvt_u32_f32_e32 v2, v2
	v_cvt_u32_f32_e32 v1, v1
	v_readfirstlane_b32 s43, v2
	v_readfirstlane_b32 s46, v1
	s_mul_i32 s50, s47, s43
	s_mul_hi_u32 s52, s47, s46
	s_mul_i32 s51, s49, s46
	s_add_i32 s50, s52, s50
	s_mul_i32 s53, s47, s46
	s_add_i32 s50, s50, s51
	s_mul_hi_u32 s52, s46, s53
	s_mul_hi_u32 s54, s43, s53
	s_mul_i32 s51, s43, s53
	s_mul_hi_u32 s53, s46, s50
	s_mul_i32 s46, s46, s50
	s_mul_hi_u32 s55, s43, s50
	s_add_u32 s46, s52, s46
	s_addc_u32 s52, 0, s53
	s_add_u32 s46, s46, s51
	s_mul_i32 s50, s43, s50
	s_addc_u32 s46, s52, s54
	s_addc_u32 s51, s55, 0
	s_add_u32 s46, s46, s50
	s_addc_u32 s50, 0, s51
	v_add_co_u32 v1, s46, v1, s46
	s_cmp_lg_u32 s46, 0
	s_addc_u32 s43, s43, s50
	v_readfirstlane_b32 s46, v1
	s_mul_i32 s50, s47, s43
	s_mul_hi_u32 s51, s47, s46
	s_mul_i32 s49, s49, s46
	s_add_i32 s50, s51, s50
	s_mul_i32 s47, s47, s46
	s_add_i32 s50, s50, s49
	s_mul_hi_u32 s51, s43, s47
	s_mul_i32 s52, s43, s47
	s_mul_hi_u32 s47, s46, s47
	s_mul_hi_u32 s53, s46, s50
	s_mul_i32 s46, s46, s50
	s_mul_hi_u32 s49, s43, s50
	s_add_u32 s46, s47, s46
	s_addc_u32 s47, 0, s53
	s_add_u32 s46, s46, s52
	s_mul_i32 s50, s43, s50
	s_addc_u32 s46, s47, s51
	s_addc_u32 s47, s49, 0
	s_add_u32 s46, s46, s50
	s_addc_u32 s47, 0, s47
	v_add_co_u32 v1, s46, v1, s46
	s_cmp_lg_u32 s46, 0
	s_addc_u32 s43, s43, s47
	v_readfirstlane_b32 s46, v1
	s_mul_i32 s49, s8, s43
	s_mul_hi_u32 s47, s8, s43
	s_mul_hi_u32 s50, s9, s43
	s_mul_i32 s43, s9, s43
	s_mul_hi_u32 s51, s8, s46
	s_mul_hi_u32 s52, s9, s46
	s_mul_i32 s46, s9, s46
	s_add_u32 s49, s51, s49
	s_addc_u32 s47, 0, s47
	s_add_u32 s46, s49, s46
	s_addc_u32 s46, s47, s52
	s_addc_u32 s47, s50, 0
	s_add_u32 s46, s46, s43
	s_addc_u32 s47, 0, s47
	s_mul_hi_u32 s43, s44, s46
	s_mul_i32 s50, s44, s47
	s_mul_i32 s51, s44, s46
	s_add_i32 s43, s43, s50
	v_sub_co_u32 v1, s50, s8, s51
	s_mul_i32 s49, s45, s46
	s_add_i32 s43, s43, s49
	v_sub_co_u32 v2, s51, v1, s44
	s_sub_i32 s49, s9, s43
	s_cmp_lg_u32 s50, 0
	s_subb_u32 s49, s49, s45
	s_cmp_lg_u32 s51, 0
	v_readfirstlane_b32 s51, v2
	s_subb_u32 s49, s49, 0
	s_cmp_ge_u32 s49, s45
	s_cselect_b32 s52, -1, 0
	s_cmp_ge_u32 s51, s44
	s_cselect_b32 s51, -1, 0
	s_cmp_eq_u32 s49, s45
	s_cselect_b32 s49, s51, s52
	s_add_u32 s51, s46, 1
	s_addc_u32 s52, s47, 0
	s_add_u32 s53, s46, 2
	s_addc_u32 s54, s47, 0
	s_cmp_lg_u32 s49, 0
	s_cselect_b32 s49, s53, s51
	s_cselect_b32 s51, s54, s52
	s_cmp_lg_u32 s50, 0
	v_readfirstlane_b32 s50, v1
	s_subb_u32 s43, s9, s43
	s_cmp_ge_u32 s43, s45
	s_cselect_b32 s52, -1, 0
	s_cmp_ge_u32 s50, s44
	s_cselect_b32 s50, -1, 0
	s_cmp_eq_u32 s43, s45
	s_cselect_b32 s43, s50, s52
	s_cmp_lg_u32 s43, 0
	s_mov_b32 s43, 0
	s_cselect_b32 s47, s51, s47
	s_cselect_b32 s46, s49, s46
.LBB0_8:                                ;   in Loop: Header=BB0_6 Depth=1
	s_andn2_b32 vcc_lo, exec_lo, s43
	s_cbranch_vccnz .LBB0_10
; %bb.9:                                ;   in Loop: Header=BB0_6 Depth=1
	v_cvt_f32_u32_e32 v1, s44
	s_sub_i32 s46, 0, s44
	v_rcp_iflag_f32_e32 v1, v1
	v_mul_f32_e32 v1, 0x4f7ffffe, v1
	v_cvt_u32_f32_e32 v1, v1
	v_readfirstlane_b32 s43, v1
	s_mul_i32 s46, s46, s43
	s_mul_hi_u32 s46, s43, s46
	s_add_i32 s43, s43, s46
	s_mul_hi_u32 s43, s8, s43
	s_mul_i32 s46, s43, s44
	s_add_i32 s47, s43, 1
	s_sub_i32 s46, s8, s46
	s_sub_i32 s49, s46, s44
	s_cmp_ge_u32 s46, s44
	s_cselect_b32 s43, s47, s43
	s_cselect_b32 s46, s49, s46
	s_add_i32 s47, s43, 1
	s_cmp_ge_u32 s46, s44
	s_cselect_b32 s46, s47, s43
	s_mov_b32 s47, s42
.LBB0_10:                               ;   in Loop: Header=BB0_6 Depth=1
	s_load_dwordx2 s[50:51], s[38:39], 0x0
	s_load_dwordx2 s[52:53], s[36:37], 0x0
	s_mul_i32 s35, s44, s35
	s_mul_hi_u32 s43, s44, s34
	s_mul_i32 s49, s45, s34
	s_mul_i32 s45, s46, s45
	s_mul_hi_u32 s54, s46, s44
	s_mul_i32 s55, s47, s44
	s_add_i32 s35, s43, s35
	s_add_i32 s43, s54, s45
	s_mul_i32 s56, s46, s44
	s_add_i32 s35, s35, s49
	s_add_i32 s43, s43, s55
	s_sub_u32 s8, s8, s56
	s_subb_u32 s9, s9, s43
	s_mul_i32 s34, s44, s34
	s_waitcnt lgkmcnt(0)
	s_mul_i32 s43, s50, s9
	s_mul_hi_u32 s45, s50, s8
	s_mul_i32 s49, s51, s8
	s_add_i32 s43, s45, s43
	s_mul_i32 s50, s50, s8
	s_mul_i32 s9, s52, s9
	s_mul_hi_u32 s45, s52, s8
	s_add_i32 s43, s43, s49
	s_add_u32 s30, s50, s30
	s_addc_u32 s31, s43, s31
	s_add_i32 s9, s45, s9
	s_mul_i32 s43, s53, s8
	s_mul_i32 s8, s52, s8
	s_add_i32 s9, s9, s43
	s_add_u32 s4, s8, s4
	s_addc_u32 s5, s9, s5
	s_add_u32 s40, s40, 1
	s_addc_u32 s41, s41, 0
	s_add_u32 s36, s36, 8
	v_cmp_ge_u64_e64 s8, s[40:41], s[10:11]
	s_addc_u32 s37, s37, 0
	s_add_u32 s38, s38, 8
	s_addc_u32 s39, s39, 0
	s_add_u32 s12, s12, 8
	s_addc_u32 s13, s13, 0
	s_and_b32 vcc_lo, exec_lo, s8
	s_cbranch_vccnz .LBB0_12
; %bb.11:                               ;   in Loop: Header=BB0_6 Depth=1
	s_mov_b64 s[8:9], s[46:47]
	s_branch .LBB0_6
.LBB0_12:
	v_cmp_lt_u64_e64 s7, s[6:7], s[34:35]
	s_mov_b64 s[8:9], 0
	s_and_b32 vcc_lo, exec_lo, s7
	s_cbranch_vccnz .LBB0_14
; %bb.13:
	v_cvt_f32_u32_e32 v1, s34
	s_sub_i32 s8, 0, s34
	v_rcp_iflag_f32_e32 v1, v1
	v_mul_f32_e32 v1, 0x4f7ffffe, v1
	v_cvt_u32_f32_e32 v1, v1
	v_readfirstlane_b32 s7, v1
	s_mul_i32 s8, s8, s7
	s_mul_hi_u32 s8, s7, s8
	s_add_i32 s7, s7, s8
	s_mul_hi_u32 s7, s6, s7
	s_mul_i32 s8, s7, s34
	s_sub_i32 s6, s6, s8
	s_add_i32 s8, s7, 1
	s_sub_i32 s9, s6, s34
	s_cmp_ge_u32 s6, s34
	s_cselect_b32 s7, s8, s7
	s_cselect_b32 s6, s9, s6
	s_add_i32 s8, s7, 1
	s_cmp_ge_u32 s6, s34
	s_cselect_b32 s8, s8, s7
.LBB0_14:
	v_mul_hi_u32 v116, 0x24924925, v0
	s_lshl_b64 s[10:11], s[10:11], 3
	s_add_u32 s6, s26, s10
	s_addc_u32 s7, s27, s11
	s_add_u32 s12, s48, 7
	s_addc_u32 s13, s33, 0
	v_mul_u32_u24_e32 v1, 7, v116
	v_lshlrev_b32_e32 v118, 4, v116
	v_add_nc_u32_e32 v115, 56, v116
	v_add_nc_u32_e32 v114, 0x70, v116
	;; [unrolled: 1-line block ×3, first 2 shown]
	v_sub_nc_u32_e32 v117, v0, v1
	v_add_nc_u32_e32 v112, 0xe0, v116
	v_add_co_u32 v1, s9, s48, v117
	v_add_co_ci_u32_e64 v2, null, s33, 0, s9
	v_cmp_le_u64_e64 s9, s[12:13], s[28:29]
	v_mul_lo_u32 v119, 0x1180, v117
	v_cmp_gt_u64_e32 vcc_lo, s[28:29], v[1:2]
	s_or_b32 s9, s9, vcc_lo
	s_and_saveexec_b32 s12, s9
	s_cbranch_execz .LBB0_16
; %bb.15:
	s_add_u32 s10, s14, s10
	s_addc_u32 s11, s15, s11
	v_mad_u64_u32 v[1:2], null, s22, v117, 0
	s_load_dwordx2 s[10:11], s[10:11], 0x0
	v_mad_u64_u32 v[3:4], null, s20, v116, 0
	v_mad_u64_u32 v[5:6], null, s20, v115, 0
	;; [unrolled: 1-line block ×3, first 2 shown]
	v_add3_u32 v21, 0, v119, v118
	v_mad_u64_u32 v[9:10], null, s23, v117, v[2:3]
	v_mad_u64_u32 v[10:11], null, s21, v116, v[4:5]
	v_mad_u64_u32 v[11:12], null, s21, v115, v[6:7]
	v_mov_b32_e32 v2, v9
	v_mov_b32_e32 v4, v10
	s_waitcnt lgkmcnt(0)
	s_mul_i32 s11, s11, s8
	s_mul_hi_u32 s13, s10, s8
	s_mul_i32 s10, s10, s8
	s_add_i32 s11, s13, s11
	v_mad_u64_u32 v[9:10], null, s20, v113, 0
	s_lshl_b64 s[10:11], s[10:11], 4
	v_lshlrev_b64 v[1:2], 4, v[1:2]
	s_add_u32 s13, s16, s10
	s_addc_u32 s14, s17, s11
	s_lshl_b64 s[10:11], s[30:31], 4
	v_mov_b32_e32 v6, v11
	s_add_u32 s10, s13, s10
	v_mad_u64_u32 v[12:13], null, s21, v114, v[8:9]
	s_addc_u32 s11, s14, s11
	v_mad_u64_u32 v[13:14], null, s20, v112, 0
	v_add_co_u32 v17, vcc_lo, s10, v1
	v_add_co_ci_u32_e32 v18, vcc_lo, s11, v2, vcc_lo
	v_lshlrev_b64 v[2:3], 4, v[3:4]
	v_mov_b32_e32 v1, v10
	v_mov_b32_e32 v8, v12
	v_lshlrev_b64 v[4:5], 4, v[5:6]
	v_mad_u64_u32 v[10:11], null, s21, v113, v[1:2]
	v_mov_b32_e32 v1, v14
	v_add_co_u32 v2, vcc_lo, v17, v2
	v_lshlrev_b64 v[6:7], 4, v[7:8]
	v_add_co_ci_u32_e32 v3, vcc_lo, v18, v3, vcc_lo
	v_mad_u64_u32 v[11:12], null, s21, v112, v[1:2]
	v_add_co_u32 v15, vcc_lo, v17, v4
	v_add_co_ci_u32_e32 v16, vcc_lo, v18, v5, vcc_lo
	v_lshlrev_b64 v[4:5], 4, v[9:10]
	v_add_co_u32 v9, vcc_lo, v17, v6
	v_mov_b32_e32 v14, v11
	v_add_co_ci_u32_e32 v10, vcc_lo, v18, v7, vcc_lo
	v_lshlrev_b64 v[6:7], 4, v[13:14]
	v_add_co_u32 v13, vcc_lo, v17, v4
	v_add_co_ci_u32_e32 v14, vcc_lo, v18, v5, vcc_lo
	v_add_co_u32 v17, vcc_lo, v17, v6
	v_add_co_ci_u32_e32 v18, vcc_lo, v18, v7, vcc_lo
	s_clause 0x4
	global_load_dwordx4 v[1:4], v[2:3], off
	global_load_dwordx4 v[5:8], v[15:16], off
	;; [unrolled: 1-line block ×5, first 2 shown]
	s_waitcnt vmcnt(4)
	ds_write_b128 v21, v[1:4]
	s_waitcnt vmcnt(3)
	ds_write_b128 v21, v[5:8] offset:896
	s_waitcnt vmcnt(2)
	ds_write_b128 v21, v[9:12] offset:1792
	;; [unrolled: 2-line block ×4, first 2 shown]
.LBB0_16:
	s_or_b32 exec_lo, exec_lo, s12
	s_add_u32 s10, 0, 0x92481000
	s_addc_u32 s11, 0, 0x64
	s_mul_hi_u32 s13, s10, -7
	s_add_i32 s11, s11, 0x249248c0
	s_sub_i32 s13, s13, s10
	s_mul_i32 s14, s11, -7
	s_mul_i32 s12, s10, -7
	s_add_i32 s13, s13, s14
	s_mul_hi_u32 s15, s11, s12
	s_mul_i32 s14, s11, s12
	s_mul_i32 s16, s10, s13
	s_mul_hi_u32 s12, s10, s12
	s_mul_hi_u32 s17, s10, s13
	s_add_u32 s12, s12, s16
	v_mul_hi_u32 v5, 0x4924925, v0
	s_addc_u32 s16, 0, s17
	s_mul_hi_u32 s17, s11, s13
	s_add_u32 s12, s12, s14
	s_addc_u32 s12, s16, s15
	s_mul_i32 s13, s11, s13
	s_addc_u32 s14, s17, 0
	s_add_u32 s12, s12, s13
	s_waitcnt lgkmcnt(0)
	v_add_co_u32 v3, s10, s10, s12
	s_addc_u32 s12, 0, s14
	s_cmp_lg_u32 s10, 0
	v_add_co_u32 v36, s10, s48, v5
	v_add_co_ci_u32_e64 v6, null, s33, 0, s10
	s_addc_u32 s10, s11, s12
	v_mul_hi_u32 v7, v36, v3
	v_mad_u64_u32 v[1:2], null, v36, s10, 0
	v_mad_u64_u32 v[3:4], null, v6, v3, 0
	v_mul_u32_u24_e32 v5, 56, v5
	s_barrier
	buffer_gl0_inv
	s_mov_b32 s13, 0x3fe6a09e
	v_add_co_u32 v7, vcc_lo, v7, v1
	v_add_co_ci_u32_e32 v8, vcc_lo, 0, v2, vcc_lo
	v_mad_u64_u32 v[1:2], null, v6, s10, 0
	v_add_co_u32 v3, vcc_lo, v7, v3
	v_add_co_ci_u32_e32 v3, vcc_lo, v8, v4, vcc_lo
	v_sub_nc_u32_e32 v37, v0, v5
	s_mov_b32 s10, 0x667f3bcd
	v_add_co_ci_u32_e32 v2, vcc_lo, 0, v2, vcc_lo
	v_add_co_u32 v1, vcc_lo, v3, v1
	s_mov_b32 s11, 0xbfe6a09e
	v_add_co_ci_u32_e32 v3, vcc_lo, 0, v2, vcc_lo
	v_mad_u64_u32 v[1:2], null, v1, 7, 0
	s_mov_b32 s12, s10
	s_mov_b32 s14, exec_lo
	v_mad_u64_u32 v[2:3], null, v3, 7, v[2:3]
	v_sub_co_u32 v1, vcc_lo, v36, v1
	v_sub_co_ci_u32_e32 v2, vcc_lo, v6, v2, vcc_lo
	v_sub_co_u32 v3, vcc_lo, v1, 7
	v_subrev_co_ci_u32_e32 v4, vcc_lo, 0, v2, vcc_lo
	v_cmp_lt_u32_e32 vcc_lo, 6, v3
	v_cndmask_b32_e64 v6, 0, -1, vcc_lo
	v_cmp_lt_u32_e32 vcc_lo, 6, v1
	v_cndmask_b32_e64 v7, 0, -1, vcc_lo
	v_cmp_eq_u32_e32 vcc_lo, 0, v4
	v_cndmask_b32_e32 v4, -1, v6, vcc_lo
	v_cmp_eq_u32_e32 vcc_lo, 0, v2
	v_add_nc_u32_e32 v6, -7, v3
	v_cndmask_b32_e32 v2, -1, v7, vcc_lo
	v_cmp_ne_u32_e32 vcc_lo, 0, v4
	v_cndmask_b32_e32 v3, v3, v6, vcc_lo
	v_cmp_ne_u32_e32 vcc_lo, 0, v2
	v_cndmask_b32_e32 v0, v1, v3, vcc_lo
	v_lshlrev_b32_e32 v1, 4, v37
	v_mul_u32_u24_e32 v0, 0x118, v0
	v_add_nc_u32_e32 v39, 0, v1
	v_lshlrev_b32_e32 v38, 4, v0
	v_add_nc_u32_e32 v120, v39, v38
	v_add3_u32 v121, 0, v38, v1
	ds_read_b128 v[0:3], v120 offset:2240
	ds_read_b128 v[4:7], v121
	ds_read_b128 v[16:19], v120 offset:1120
	ds_read_b128 v[8:11], v120 offset:3360
	;; [unrolled: 1-line block ×6, first 2 shown]
	s_waitcnt lgkmcnt(0)
	s_barrier
	buffer_gl0_inv
	v_add_f64 v[0:1], v[4:5], -v[0:1]
	v_add_f64 v[2:3], v[6:7], -v[2:3]
	;; [unrolled: 1-line block ×8, first 2 shown]
	v_fma_f64 v[20:21], v[4:5], 2.0, -v[0:1]
	v_fma_f64 v[28:29], v[6:7], 2.0, -v[2:3]
	v_add_f64 v[10:11], v[2:3], -v[30:31]
	v_add_f64 v[8:9], v[0:1], v[40:41]
	v_fma_f64 v[4:5], v[16:17], 2.0, -v[30:31]
	v_fma_f64 v[6:7], v[18:19], 2.0, -v[40:41]
	v_add_f64 v[14:15], v[42:43], v[46:47]
	v_add_f64 v[12:13], v[44:45], -v[26:27]
	v_fma_f64 v[22:23], v[22:23], 2.0, -v[42:43]
	v_fma_f64 v[30:31], v[24:25], 2.0, -v[44:45]
	;; [unrolled: 1-line block ×6, first 2 shown]
	v_add_f64 v[24:25], v[20:21], -v[4:5]
	v_fma_f64 v[2:3], v[42:43], 2.0, -v[14:15]
	v_fma_f64 v[40:41], v[44:45], 2.0, -v[12:13]
	v_add_f64 v[26:27], v[28:29], -v[6:7]
	v_add_f64 v[34:35], v[30:31], -v[34:35]
	;; [unrolled: 1-line block ×3, first 2 shown]
	v_fma_f64 v[4:5], v[2:3], s[10:11], v[16:17]
	v_fma_f64 v[6:7], v[40:41], s[10:11], v[18:19]
	v_add_f64 v[0:1], v[24:25], v[34:35]
	v_fma_f64 v[4:5], v[40:41], s[12:13], v[4:5]
	v_fma_f64 v[6:7], v[2:3], s[10:11], v[6:7]
	v_add_f64 v[2:3], v[26:27], -v[32:33]
	v_cmpx_gt_u32_e32 35, v37
	s_cbranch_execz .LBB0_18
; %bb.17:
	v_fma_f64 v[28:29], v[28:29], 2.0, -v[26:27]
	v_fma_f64 v[30:31], v[30:31], 2.0, -v[34:35]
	;; [unrolled: 1-line block ×4, first 2 shown]
	v_fma_f64 v[40:41], v[12:13], s[12:13], v[10:11]
	v_fma_f64 v[32:33], v[14:15], s[12:13], v[8:9]
	v_fma_f64 v[18:19], v[18:19], 2.0, -v[6:7]
	v_fma_f64 v[16:17], v[16:17], 2.0, -v[4:5]
	;; [unrolled: 1-line block ×4, first 2 shown]
	v_add_f64 v[22:23], v[28:29], -v[30:31]
	v_add_f64 v[20:21], v[34:35], -v[20:21]
	v_fma_f64 v[14:15], v[14:15], s[10:11], v[40:41]
	v_fma_f64 v[12:13], v[12:13], s[12:13], v[32:33]
	v_mul_i32_i24_e32 v32, 0x70, v37
	v_add3_u32 v32, v39, v32, v38
	v_fma_f64 v[30:31], v[28:29], 2.0, -v[22:23]
	v_fma_f64 v[28:29], v[34:35], 2.0, -v[20:21]
	;; [unrolled: 1-line block ×4, first 2 shown]
	ds_write_b128 v32, v[4:7] offset:80
	ds_write_b128 v32, v[0:3] offset:96
	;; [unrolled: 1-line block ×5, first 2 shown]
	ds_write_b128 v32, v[28:31]
	ds_write_b128 v32, v[8:11] offset:48
	ds_write_b128 v32, v[12:15] offset:112
.LBB0_18:
	s_or_b32 exec_lo, exec_lo, s14
	v_and_b32_e32 v63, 7, v37
	s_load_dwordx2 s[6:7], s[6:7], 0x0
	s_waitcnt lgkmcnt(0)
	s_barrier
	buffer_gl0_inv
	v_lshlrev_b32_e32 v20, 6, v63
	s_mov_b32 s10, 0x134454ff
	s_mov_b32 s11, 0xbfee6f0e
	;; [unrolled: 1-line block ×4, first 2 shown]
	s_clause 0x3
	global_load_dwordx4 v[8:11], v20, s[24:25]
	global_load_dwordx4 v[12:15], v20, s[24:25] offset:16
	global_load_dwordx4 v[16:19], v20, s[24:25] offset:32
	;; [unrolled: 1-line block ×3, first 2 shown]
	ds_read_b128 v[24:27], v120 offset:896
	ds_read_b128 v[28:31], v120 offset:1792
	;; [unrolled: 1-line block ×4, first 2 shown]
	v_cmp_gt_u32_e32 vcc_lo, 40, v37
	s_waitcnt vmcnt(3) lgkmcnt(3)
	v_mul_f64 v[43:44], v[26:27], v[10:11]
	s_waitcnt vmcnt(2) lgkmcnt(2)
	v_mul_f64 v[45:46], v[30:31], v[14:15]
	;; [unrolled: 2-line block ×3, first 2 shown]
	v_mul_f64 v[10:11], v[24:25], v[10:11]
	s_waitcnt vmcnt(0) lgkmcnt(0)
	v_mul_f64 v[49:50], v[41:42], v[22:23]
	v_mul_f64 v[14:15], v[28:29], v[14:15]
	v_mul_f64 v[18:19], v[32:33], v[18:19]
	v_mul_f64 v[22:23], v[39:40], v[22:23]
	v_fma_f64 v[24:25], v[24:25], v[8:9], v[43:44]
	v_fma_f64 v[28:29], v[28:29], v[12:13], v[45:46]
	;; [unrolled: 1-line block ×3, first 2 shown]
	v_fma_f64 v[26:27], v[26:27], v[8:9], -v[10:11]
	v_fma_f64 v[39:40], v[39:40], v[20:21], v[49:50]
	v_fma_f64 v[12:13], v[30:31], v[12:13], -v[14:15]
	v_fma_f64 v[14:15], v[34:35], v[16:17], -v[18:19]
	;; [unrolled: 1-line block ×3, first 2 shown]
	ds_read_b128 v[8:11], v121
	s_waitcnt lgkmcnt(0)
	s_barrier
	buffer_gl0_inv
	v_add_f64 v[18:19], v[28:29], v[32:33]
	v_add_f64 v[20:21], v[24:25], v[39:40]
	v_add_f64 v[47:48], v[24:25], -v[39:40]
	v_add_f64 v[22:23], v[12:13], v[14:15]
	v_add_f64 v[30:31], v[26:27], v[16:17]
	;; [unrolled: 1-line block ×3, first 2 shown]
	v_add_f64 v[41:42], v[26:27], -v[16:17]
	v_add_f64 v[43:44], v[12:13], -v[14:15]
	v_add_f64 v[45:46], v[10:11], v[26:27]
	v_add_f64 v[49:50], v[39:40], -v[32:33]
	v_add_f64 v[51:52], v[32:33], -v[39:40]
	;; [unrolled: 1-line block ×6, first 2 shown]
	v_fma_f64 v[18:19], v[18:19], -0.5, v[8:9]
	v_fma_f64 v[8:9], v[20:21], -0.5, v[8:9]
	v_add_f64 v[20:21], v[28:29], -v[32:33]
	v_fma_f64 v[22:23], v[22:23], -0.5, v[10:11]
	v_fma_f64 v[10:11], v[30:31], -0.5, v[10:11]
	v_add_f64 v[30:31], v[24:25], -v[28:29]
	v_add_f64 v[24:25], v[28:29], -v[24:25]
	v_add_f64 v[28:29], v[34:35], v[28:29]
	v_add_f64 v[12:13], v[45:46], v[12:13]
	;; [unrolled: 1-line block ×3, first 2 shown]
	v_fma_f64 v[34:35], v[41:42], s[10:11], v[18:19]
	v_fma_f64 v[18:19], v[41:42], s[12:13], v[18:19]
	v_fma_f64 v[45:46], v[43:44], s[12:13], v[8:9]
	v_fma_f64 v[8:9], v[43:44], s[10:11], v[8:9]
	v_fma_f64 v[59:60], v[47:48], s[12:13], v[22:23]
	v_fma_f64 v[61:62], v[20:21], s[10:11], v[10:11]
	v_fma_f64 v[10:11], v[20:21], s[12:13], v[10:11]
	v_fma_f64 v[22:23], v[47:48], s[10:11], v[22:23]
	s_mov_b32 s10, 0x4755a5e
	s_mov_b32 s11, 0xbfe2cf23
	;; [unrolled: 1-line block ×4, first 2 shown]
	v_add_f64 v[30:31], v[30:31], v[49:50]
	v_add_f64 v[24:25], v[24:25], v[51:52]
	;; [unrolled: 1-line block ×5, first 2 shown]
	v_fma_f64 v[14:15], v[43:44], s[10:11], v[34:35]
	v_fma_f64 v[18:19], v[43:44], s[12:13], v[18:19]
	;; [unrolled: 1-line block ×8, first 2 shown]
	v_lshrrev_b32_e32 v8, 3, v37
	s_mov_b32 s10, 0x372fe950
	s_mov_b32 s11, 0x3fd3c6ef
	v_mul_lo_u32 v22, v8, 40
	v_add_f64 v[8:9], v[28:29], v[39:40]
	v_add_f64 v[10:11], v[12:13], v[16:17]
	v_or_b32_e32 v12, v22, v63
	v_fma_f64 v[64:65], v[30:31], s[10:11], v[14:15]
	v_fma_f64 v[80:81], v[30:31], s[10:11], v[18:19]
	;; [unrolled: 1-line block ×8, first 2 shown]
	v_lshlrev_b32_e32 v12, 4, v12
	v_add3_u32 v12, 0, v12, v38
	ds_write_b128 v12, v[8:11]
	ds_write_b128 v12, v[64:67] offset:128
	ds_write_b128 v12, v[68:71] offset:256
	ds_write_b128 v12, v[72:75] offset:384
	ds_write_b128 v12, v[80:83] offset:512
	s_waitcnt lgkmcnt(0)
	s_barrier
	buffer_gl0_inv
	s_and_saveexec_b32 s10, vcc_lo
	s_cbranch_execz .LBB0_20
; %bb.19:
	ds_read_b128 v[8:11], v121
	ds_read_b128 v[64:67], v120 offset:640
	ds_read_b128 v[68:71], v120 offset:1280
	;; [unrolled: 1-line block ×6, first 2 shown]
.LBB0_20:
	s_or_b32 exec_lo, exec_lo, s10
	v_subrev_nc_u32_e32 v12, 40, v37
	v_mul_lo_u32 v40, v36, 40
	s_add_i32 s10, 0, 0x7a80
	v_cndmask_b32_e32 v122, v12, v37, vcc_lo
	v_mul_lo_u32 v12, v122, v36
	v_and_b32_e32 v13, 63, v12
	v_lshrrev_b32_e32 v14, 2, v12
	v_lshrrev_b32_e32 v15, 8, v12
	v_add_nc_u32_e32 v12, v12, v40
	v_lshl_add_u32 v13, v13, 4, 0
	v_and_b32_e32 v14, 0x3f0, v14
	v_and_b32_e32 v15, 0x3f0, v15
	;; [unrolled: 1-line block ×3, first 2 shown]
	v_lshrrev_b32_e32 v17, 2, v12
	v_lshrrev_b32_e32 v18, 8, v12
	v_add_nc_u32_e32 v12, v12, v40
	v_add_nc_u32_e32 v14, s10, v14
	;; [unrolled: 1-line block ×3, first 2 shown]
	v_and_b32_e32 v17, 0x3f0, v17
	v_and_b32_e32 v18, 0x3f0, v18
	v_lshrrev_b32_e32 v20, 2, v12
	v_lshl_add_u32 v16, v16, 4, 0
	v_and_b32_e32 v19, 63, v12
	v_lshrrev_b32_e32 v21, 8, v12
	v_add_nc_u32_e32 v22, v12, v40
	ds_read_b128 v[24:27], v13 offset:31360
	ds_read_b128 v[28:31], v14 offset:1024
	ds_read_b128 v[12:15], v15 offset:2048
	ds_read_b128 v[36:39], v16 offset:31360
	v_add_nc_u32_e32 v16, s10, v17
	v_add_nc_u32_e32 v17, s10, v18
	v_and_b32_e32 v18, 0x3f0, v20
	v_lshl_add_u32 v23, v19, 4, 0
	v_and_b32_e32 v20, 0x3f0, v21
	v_and_b32_e32 v21, 63, v22
	v_add_nc_u32_e32 v33, v22, v40
	v_add_nc_u32_e32 v34, s10, v18
	v_lshrrev_b32_e32 v32, 2, v22
	ds_read_b128 v[44:47], v16 offset:1024
	ds_read_b128 v[16:19], v17 offset:2048
	;; [unrolled: 1-line block ×4, first 2 shown]
	v_lshrrev_b32_e32 v34, 8, v22
	v_add_nc_u32_e32 v20, s10, v20
	v_lshl_add_u32 v35, v21, 4, 0
	v_lshrrev_b32_e32 v41, 2, v33
	v_and_b32_e32 v32, 0x3f0, v32
	v_lshrrev_b32_e32 v42, 8, v33
	v_add_nc_u32_e32 v43, v33, v40
	v_and_b32_e32 v34, 0x3f0, v34
	ds_read_b128 v[20:23], v20 offset:2048
	ds_read_b128 v[76:79], v35 offset:31360
	v_and_b32_e32 v35, 63, v33
	v_and_b32_e32 v41, 0x3f0, v41
	v_add_nc_u32_e32 v32, s10, v32
	v_and_b32_e32 v42, 0x3f0, v42
	v_and_b32_e32 v57, 63, v43
	v_add_nc_u32_e32 v33, s10, v34
	v_lshl_add_u32 v56, v35, 4, 0
	v_add_nc_u32_e32 v41, s10, v41
	ds_read_b128 v[84:87], v32 offset:1024
	ds_read_b128 v[32:35], v33 offset:2048
	;; [unrolled: 1-line block ×4, first 2 shown]
	v_add_nc_u32_e32 v41, s10, v42
	v_lshl_add_u32 v56, v57, 4, 0
	v_add_nc_u32_e32 v57, v43, v40
	v_lshrrev_b32_e32 v58, 2, v43
	v_lshrrev_b32_e32 v59, 8, v43
	ds_read_b128 v[40:43], v41 offset:2048
	ds_read_b128 v[96:99], v56 offset:31360
	v_lshrrev_b32_e32 v56, 2, v57
	v_lshrrev_b32_e32 v60, 8, v57
	v_and_b32_e32 v58, 0x3f0, v58
	v_and_b32_e32 v59, 0x3f0, v59
	;; [unrolled: 1-line block ×5, first 2 shown]
	v_add_nc_u32_e32 v58, s10, v58
	v_add_nc_u32_e32 v59, s10, v59
	v_lshl_add_u32 v61, v57, 4, 0
	v_add_nc_u32_e32 v62, s10, v56
	v_add_nc_u32_e32 v60, s10, v60
	ds_read_b128 v[100:103], v58 offset:1024
	ds_read_b128 v[56:59], v59 offset:2048
	;; [unrolled: 1-line block ×5, first 2 shown]
	s_waitcnt lgkmcnt(0)
	s_barrier
	buffer_gl0_inv
	s_and_saveexec_b32 s14, vcc_lo
	s_cbranch_execz .LBB0_22
; %bb.21:
	v_mul_i32_i24_e32 v122, 6, v122
	v_mov_b32_e32 v123, 0
	s_mov_b32 s12, 0xe976ee23
	s_mov_b32 s13, 0x3fe11646
	;; [unrolled: 1-line block ×4, first 2 shown]
	v_lshlrev_b64 v[122:123], 4, v[122:123]
	s_mov_b32 s11, 0xbfd5d0dc
	s_mov_b32 s10, 0xb247c609
	;; [unrolled: 1-line block ×5, first 2 shown]
	v_add_co_u32 v130, vcc_lo, s24, v122
	v_add_co_ci_u32_e32 v131, vcc_lo, s25, v123, vcc_lo
	s_mov_b32 s23, 0xbfdc38aa
	s_clause 0x1
	global_load_dwordx4 v[122:125], v[130:131], off offset:544
	global_load_dwordx4 v[126:129], v[130:131], off offset:560
	s_waitcnt vmcnt(1)
	v_mul_f64 v[132:133], v[74:75], v[124:125]
	v_fma_f64 v[132:133], v[72:73], v[122:123], v[132:133]
	v_mul_f64 v[72:73], v[72:73], v[124:125]
	v_fma_f64 v[122:123], v[74:75], v[122:123], -v[72:73]
	s_waitcnt vmcnt(0)
	v_mul_f64 v[72:73], v[82:83], v[128:129]
	v_mul_f64 v[74:75], v[80:81], v[128:129]
	v_fma_f64 v[124:125], v[80:81], v[126:127], v[72:73]
	v_fma_f64 v[126:127], v[82:83], v[126:127], -v[74:75]
	s_clause 0x1
	global_load_dwordx4 v[72:75], v[130:131], off offset:528
	global_load_dwordx4 v[80:83], v[130:131], off offset:512
	s_waitcnt vmcnt(1)
	v_mul_f64 v[128:129], v[70:71], v[74:75]
	v_fma_f64 v[128:129], v[68:69], v[72:73], v[128:129]
	v_mul_f64 v[68:69], v[68:69], v[74:75]
	v_fma_f64 v[134:135], v[70:71], v[72:73], -v[68:69]
	s_clause 0x1
	global_load_dwordx4 v[68:71], v[130:131], off offset:576
	global_load_dwordx4 v[72:75], v[130:131], off offset:592
	s_waitcnt vmcnt(1)
	v_mul_f64 v[130:131], v[6:7], v[70:71]
	v_fma_f64 v[130:131], v[4:5], v[68:69], v[130:131]
	v_mul_f64 v[4:5], v[4:5], v[70:71]
	v_mul_f64 v[70:71], v[106:107], v[110:111]
	v_fma_f64 v[4:5], v[6:7], v[68:69], -v[4:5]
	v_mul_f64 v[6:7], v[66:67], v[82:83]
	s_waitcnt vmcnt(0)
	v_mul_f64 v[68:69], v[2:3], v[74:75]
	v_fma_f64 v[70:71], v[104:105], v[108:109], -v[70:71]
	v_fma_f64 v[6:7], v[64:65], v[80:81], v[6:7]
	v_mul_f64 v[64:65], v[64:65], v[82:83]
	v_add_f64 v[82:83], v[128:129], v[130:131]
	v_fma_f64 v[64:65], v[66:67], v[80:81], -v[64:65]
	v_mul_f64 v[66:67], v[0:1], v[74:75]
	v_fma_f64 v[0:1], v[0:1], v[72:73], v[68:69]
	v_mul_f64 v[80:81], v[96:97], v[102:103]
	v_mul_f64 v[68:69], v[98:99], v[102:103]
	v_fma_f64 v[2:3], v[2:3], v[72:73], -v[66:67]
	v_mul_f64 v[66:67], v[104:105], v[110:111]
	v_add_f64 v[72:73], v[134:135], v[4:5]
	v_add_f64 v[104:105], v[128:129], -v[130:131]
	v_add_f64 v[4:5], v[134:135], -v[4:5]
	v_add_f64 v[102:103], v[6:7], v[0:1]
	v_mul_f64 v[110:111], v[90:91], v[94:95]
	v_fma_f64 v[80:81], v[98:99], v[100:101], v[80:81]
	v_add_f64 v[0:1], v[6:7], -v[0:1]
	v_fma_f64 v[68:69], v[96:97], v[100:101], -v[68:69]
	v_mul_f64 v[100:101], v[50:51], v[54:55]
	v_mul_f64 v[54:55], v[48:49], v[54:55]
	v_add_f64 v[74:75], v[64:65], v[2:3]
	v_fma_f64 v[66:67], v[106:107], v[108:109], v[66:67]
	v_add_f64 v[106:107], v[124:125], -v[132:133]
	v_add_f64 v[108:109], v[126:127], -v[122:123]
	;; [unrolled: 1-line block ×3, first 2 shown]
	v_mul_f64 v[64:65], v[88:89], v[94:95]
	v_add_f64 v[94:95], v[122:123], v[126:127]
	v_add_f64 v[122:123], v[132:133], v[124:125]
	;; [unrolled: 1-line block ×3, first 2 shown]
	v_fma_f64 v[88:89], v[88:89], v[92:93], -v[110:111]
	v_mul_f64 v[126:127], v[78:79], v[86:87]
	v_mul_f64 v[86:87], v[76:77], v[86:87]
	v_fma_f64 v[48:49], v[48:49], v[52:53], -v[100:101]
	v_fma_f64 v[50:51], v[50:51], v[52:53], v[54:55]
	v_add_f64 v[124:125], v[72:73], v[74:75]
	v_add_f64 v[6:7], v[106:107], -v[104:105]
	v_add_f64 v[98:99], v[108:109], -v[4:5]
	v_fma_f64 v[64:65], v[90:91], v[92:93], v[64:65]
	v_add_f64 v[90:91], v[4:5], -v[2:3]
	v_add_f64 v[92:93], v[74:75], -v[94:95]
	;; [unrolled: 1-line block ×5, first 2 shown]
	v_add_f64 v[96:97], v[122:123], v[96:97]
	v_add_f64 v[4:5], v[108:109], v[4:5]
	v_add_f64 v[108:109], v[2:3], -v[108:109]
	v_fma_f64 v[76:77], v[76:77], v[84:85], -v[126:127]
	v_mul_f64 v[126:127], v[26:27], v[30:31]
	v_fma_f64 v[78:79], v[78:79], v[84:85], v[86:87]
	v_mul_f64 v[86:87], v[38:39], v[46:47]
	v_mul_f64 v[30:31], v[24:25], v[30:31]
	;; [unrolled: 1-line block ×3, first 2 shown]
	v_add_f64 v[94:95], v[94:95], v[124:125]
	v_add_f64 v[124:125], v[122:123], -v[82:83]
	v_mul_f64 v[6:7], v[6:7], s[12:13]
	v_mul_f64 v[98:99], v[98:99], s[12:13]
	s_mov_b32 s12, 0x429ad128
	v_add_f64 v[122:123], v[106:107], v[104:105]
	v_add_f64 v[106:107], v[0:1], -v[106:107]
	s_mov_b32 s13, 0xbfebfeb5
	v_add_f64 v[104:105], v[104:105], -v[0:1]
	v_add_f64 v[82:83], v[82:83], -v[102:103]
	v_mul_f64 v[102:103], v[90:91], s[12:13]
	v_mul_f64 v[92:93], v[92:93], s[16:17]
	;; [unrolled: 1-line block ×3, first 2 shown]
	s_mov_b32 s16, 0x36b3c0b5
	s_mov_b32 s17, 0x3fac98ee
	v_add_f64 v[2:3], v[4:5], v[2:3]
	v_add_f64 v[8:9], v[8:9], v[96:97]
	v_fma_f64 v[24:25], v[24:25], v[28:29], -v[126:127]
	v_fma_f64 v[36:37], v[36:37], v[44:45], -v[86:87]
	v_fma_f64 v[26:27], v[26:27], v[28:29], v[30:31]
	v_fma_f64 v[38:39], v[38:39], v[44:45], v[46:47]
	v_mul_f64 v[28:29], v[66:67], v[62:63]
	v_add_f64 v[10:11], v[10:11], v[94:95]
	v_mul_f64 v[84:85], v[124:125], s[16:17]
	v_mul_f64 v[30:31], v[70:71], v[62:63]
	v_fma_f64 v[90:91], v[90:91], s[12:13], -v[98:99]
	v_mul_f64 v[44:45], v[68:69], v[58:59]
	v_add_f64 v[0:1], v[122:123], v[0:1]
	v_fma_f64 v[4:5], v[106:107], s[10:11], v[6:7]
	v_fma_f64 v[122:123], v[108:109], s[10:11], v[98:99]
	s_mov_b32 s11, 0x3fd5d0dc
	v_mul_f64 v[98:99], v[104:105], s[12:13]
	v_fma_f64 v[102:103], v[108:109], s[10:11], -v[102:103]
	v_fma_f64 v[108:109], v[72:73], s[16:17], v[92:93]
	v_mul_f64 v[72:73], v[72:73], s[16:17]
	v_fma_f64 v[124:125], v[124:125], s[16:17], v[110:111]
	s_mov_b32 s16, 0xaaaaaaaa
	v_fma_f64 v[92:93], v[74:75], s[20:21], -v[92:93]
	v_fma_f64 v[110:111], v[82:83], s[20:21], -v[110:111]
	s_mov_b32 s21, 0x3fe77f67
	s_mov_b32 s17, 0xbff2aaaa
	v_fma_f64 v[6:7], v[104:105], s[12:13], -v[6:7]
	v_mul_f64 v[46:47], v[88:89], v[42:43]
	v_mul_f64 v[54:55], v[76:77], v[34:35]
	v_fma_f64 v[94:95], v[94:95], s[16:17], v[10:11]
	v_fma_f64 v[82:83], v[82:83], s[20:21], -v[84:85]
	v_fma_f64 v[84:85], v[96:97], s[16:17], v[8:9]
	v_mul_f64 v[62:63], v[48:49], v[22:23]
	v_fma_f64 v[90:91], v[2:3], s[22:23], v[90:91]
	v_mul_f64 v[58:59], v[80:81], v[58:59]
	v_fma_f64 v[4:5], v[0:1], s[22:23], v[4:5]
	v_fma_f64 v[96:97], v[2:3], s[22:23], v[122:123]
	v_mul_f64 v[42:43], v[64:65], v[42:43]
	v_fma_f64 v[86:87], v[106:107], s[10:11], -v[98:99]
	v_fma_f64 v[2:3], v[2:3], s[22:23], v[102:103]
	v_mul_f64 v[34:35], v[78:79], v[34:35]
	v_fma_f64 v[52:53], v[74:75], s[20:21], -v[72:73]
	v_mul_f64 v[74:75], v[24:25], v[14:15]
	v_mul_f64 v[72:73], v[36:37], v[18:19]
	;; [unrolled: 1-line block ×5, first 2 shown]
	v_fma_f64 v[30:31], v[60:61], v[66:67], v[30:31]
	v_fma_f64 v[6:7], v[0:1], s[22:23], v[6:7]
	;; [unrolled: 1-line block ×5, first 2 shown]
	v_fma_f64 v[28:29], v[60:61], v[70:71], -v[28:29]
	v_add_f64 v[98:99], v[124:125], v[84:85]
	v_add_f64 v[100:101], v[110:111], v[84:85]
	;; [unrolled: 1-line block ×4, first 2 shown]
	v_fma_f64 v[50:51], v[20:21], v[50:51], v[62:63]
	v_fma_f64 v[56:57], v[56:57], v[68:69], -v[58:59]
	v_fma_f64 v[40:41], v[40:41], v[88:89], -v[42:43]
	v_fma_f64 v[0:1], v[0:1], s[22:23], v[86:87]
	v_add_f64 v[86:87], v[92:93], v[94:95]
	v_fma_f64 v[32:33], v[32:33], v[76:77], -v[34:35]
	v_add_f64 v[52:53], v[52:53], v[94:95]
	v_fma_f64 v[26:27], v[12:13], v[26:27], v[74:75]
	v_fma_f64 v[38:39], v[16:17], v[38:39], v[72:73]
	v_fma_f64 v[20:21], v[20:21], v[48:49], -v[22:23]
	v_fma_f64 v[16:17], v[16:17], v[36:37], -v[18:19]
	v_add_f64 v[78:79], v[96:97], v[98:99]
	v_add_f64 v[64:65], v[100:101], -v[2:3]
	v_add_f64 v[66:67], v[90:91], v[82:83]
	v_add_f64 v[72:73], v[82:83], -v[90:91]
	v_add_f64 v[74:75], v[2:3], v[100:101]
	v_add_f64 v[80:81], v[84:85], -v[4:5]
	v_add_f64 v[62:63], v[98:99], -v[96:97]
	v_add_f64 v[4:5], v[4:5], v[84:85]
	v_add_f64 v[82:83], v[86:87], -v[0:1]
	v_add_f64 v[86:87], v[0:1], v[86:87]
	v_add_f64 v[90:91], v[6:7], v[52:53]
	v_add_f64 v[52:53], v[52:53], -v[6:7]
	v_fma_f64 v[0:1], v[12:13], v[24:25], -v[14:15]
	v_mul_f64 v[2:3], v[8:9], v[26:27]
	v_mul_f64 v[6:7], v[10:11], v[26:27]
	;; [unrolled: 1-line block ×14, first 2 shown]
	v_fma_f64 v[2:3], v[10:11], v[0:1], -v[2:3]
	v_fma_f64 v[0:1], v[8:9], v[0:1], v[6:7]
	v_fma_f64 v[26:27], v[80:81], v[16:17], -v[26:27]
	v_fma_f64 v[10:11], v[86:87], v[56:57], -v[14:15]
	v_fma_f64 v[14:15], v[52:53], v[40:41], -v[18:19]
	v_fma_f64 v[18:19], v[90:91], v[32:33], -v[22:23]
	v_fma_f64 v[22:23], v[82:83], v[20:21], -v[24:25]
	v_fma_f64 v[24:25], v[78:79], v[16:17], v[34:35]
	v_fma_f64 v[6:7], v[4:5], v[28:29], -v[12:13]
	v_fma_f64 v[4:5], v[62:63], v[28:29], v[30:31]
	v_fma_f64 v[20:21], v[74:75], v[20:21], v[36:37]
	;; [unrolled: 1-line block ×5, first 2 shown]
	ds_write_b128 v121, v[0:3]
	ds_write_b128 v120, v[24:27] offset:640
	ds_write_b128 v120, v[20:23] offset:1280
	;; [unrolled: 1-line block ×6, first 2 shown]
.LBB0_22:
	s_or_b32 exec_lo, exec_lo, s14
	s_waitcnt lgkmcnt(0)
	s_barrier
	buffer_gl0_inv
	s_and_saveexec_b32 s10, s9
	s_cbranch_execz .LBB0_24
; %bb.23:
	v_mad_u64_u32 v[0:1], null, s2, v117, 0
	v_mad_u64_u32 v[2:3], null, s0, v116, 0
	s_mul_i32 s7, s7, s8
	s_mul_hi_u32 s9, s6, s8
	v_mad_u64_u32 v[8:9], null, s0, v115, 0
	s_mul_i32 s2, s6, s8
	v_mad_u64_u32 v[10:11], null, s0, v114, 0
	v_mad_u64_u32 v[4:5], null, s3, v117, v[1:2]
	s_add_i32 s3, s9, s7
	v_mad_u64_u32 v[20:21], null, s0, v113, 0
	s_lshl_b64 s[2:3], s[2:3], 4
	v_mad_u64_u32 v[24:25], null, s0, v112, 0
	v_mad_u64_u32 v[5:6], null, s1, v116, v[3:4]
	v_mov_b32_e32 v1, v4
	s_add_u32 s6, s18, s2
	s_addc_u32 s7, s19, s3
	s_lshl_b64 s[2:3], s[4:5], 4
	v_mov_b32_e32 v4, v9
	v_lshlrev_b64 v[0:1], 4, v[0:1]
	v_mov_b32_e32 v3, v5
	s_add_u32 s2, s6, s2
	s_addc_u32 s3, s7, s3
	v_mov_b32_e32 v13, v25
	v_add3_u32 v16, 0, v119, v118
	v_add_co_u32 v30, vcc_lo, s2, v0
	v_lshlrev_b64 v[2:3], 4, v[2:3]
	v_add_co_ci_u32_e32 v31, vcc_lo, s3, v1, vcc_lo
	v_mad_u64_u32 v[0:1], null, s1, v115, v[4:5]
	v_mov_b32_e32 v1, v11
	v_add_co_u32 v22, vcc_lo, v30, v2
	v_add_co_ci_u32_e32 v23, vcc_lo, v31, v3, vcc_lo
	v_mad_u64_u32 v[11:12], null, s1, v114, v[1:2]
	v_mov_b32_e32 v12, v21
	v_mov_b32_e32 v9, v0
	ds_read_b128 v[0:3], v16
	ds_read_b128 v[4:7], v16 offset:896
	v_mad_u64_u32 v[14:15], null, s1, v113, v[12:13]
	v_lshlrev_b64 v[8:9], 4, v[8:9]
	v_lshlrev_b64 v[28:29], 4, v[10:11]
	v_mad_u64_u32 v[25:26], null, s1, v112, v[13:14]
	v_add_co_u32 v26, vcc_lo, v30, v8
	v_add_co_ci_u32_e32 v27, vcc_lo, v31, v9, vcc_lo
	v_mov_b32_e32 v21, v14
	ds_read_b128 v[8:11], v16 offset:1792
	ds_read_b128 v[12:15], v16 offset:2688
	;; [unrolled: 1-line block ×3, first 2 shown]
	v_add_co_u32 v28, vcc_lo, v30, v28
	v_lshlrev_b64 v[24:25], 4, v[24:25]
	v_lshlrev_b64 v[20:21], 4, v[20:21]
	v_add_co_ci_u32_e32 v29, vcc_lo, v31, v29, vcc_lo
	v_add_co_u32 v20, vcc_lo, v30, v20
	v_add_co_ci_u32_e32 v21, vcc_lo, v31, v21, vcc_lo
	v_add_co_u32 v24, vcc_lo, v30, v24
	v_add_co_ci_u32_e32 v25, vcc_lo, v31, v25, vcc_lo
	s_waitcnt lgkmcnt(4)
	global_store_dwordx4 v[22:23], v[0:3], off
	s_waitcnt lgkmcnt(3)
	global_store_dwordx4 v[26:27], v[4:7], off
	;; [unrolled: 2-line block ×5, first 2 shown]
.LBB0_24:
	s_endpgm
	.section	.rodata,"a",@progbits
	.p2align	6, 0x0
	.amdhsa_kernel fft_rtc_back_len280_factors_8_5_7_wgs_392_tpt_56_dp_op_CI_CI_sbcc_twdbase6_3step
		.amdhsa_group_segment_fixed_size 0
		.amdhsa_private_segment_fixed_size 0
		.amdhsa_kernarg_size 112
		.amdhsa_user_sgpr_count 6
		.amdhsa_user_sgpr_private_segment_buffer 1
		.amdhsa_user_sgpr_dispatch_ptr 0
		.amdhsa_user_sgpr_queue_ptr 0
		.amdhsa_user_sgpr_kernarg_segment_ptr 1
		.amdhsa_user_sgpr_dispatch_id 0
		.amdhsa_user_sgpr_flat_scratch_init 0
		.amdhsa_user_sgpr_private_segment_size 0
		.amdhsa_wavefront_size32 1
		.amdhsa_uses_dynamic_stack 0
		.amdhsa_system_sgpr_private_segment_wavefront_offset 0
		.amdhsa_system_sgpr_workgroup_id_x 1
		.amdhsa_system_sgpr_workgroup_id_y 0
		.amdhsa_system_sgpr_workgroup_id_z 0
		.amdhsa_system_sgpr_workgroup_info 0
		.amdhsa_system_vgpr_workitem_id 0
		.amdhsa_next_free_vgpr 136
		.amdhsa_next_free_sgpr 57
		.amdhsa_reserve_vcc 1
		.amdhsa_reserve_flat_scratch 0
		.amdhsa_float_round_mode_32 0
		.amdhsa_float_round_mode_16_64 0
		.amdhsa_float_denorm_mode_32 3
		.amdhsa_float_denorm_mode_16_64 3
		.amdhsa_dx10_clamp 1
		.amdhsa_ieee_mode 1
		.amdhsa_fp16_overflow 0
		.amdhsa_workgroup_processor_mode 1
		.amdhsa_memory_ordered 1
		.amdhsa_forward_progress 0
		.amdhsa_shared_vgpr_count 0
		.amdhsa_exception_fp_ieee_invalid_op 0
		.amdhsa_exception_fp_denorm_src 0
		.amdhsa_exception_fp_ieee_div_zero 0
		.amdhsa_exception_fp_ieee_overflow 0
		.amdhsa_exception_fp_ieee_underflow 0
		.amdhsa_exception_fp_ieee_inexact 0
		.amdhsa_exception_int_div_zero 0
	.end_amdhsa_kernel
	.text
.Lfunc_end0:
	.size	fft_rtc_back_len280_factors_8_5_7_wgs_392_tpt_56_dp_op_CI_CI_sbcc_twdbase6_3step, .Lfunc_end0-fft_rtc_back_len280_factors_8_5_7_wgs_392_tpt_56_dp_op_CI_CI_sbcc_twdbase6_3step
                                        ; -- End function
	.section	.AMDGPU.csdata,"",@progbits
; Kernel info:
; codeLenInByte = 6904
; NumSgprs: 59
; NumVgprs: 136
; ScratchSize: 0
; MemoryBound: 0
; FloatMode: 240
; IeeeMode: 1
; LDSByteSize: 0 bytes/workgroup (compile time only)
; SGPRBlocks: 7
; VGPRBlocks: 16
; NumSGPRsForWavesPerEU: 59
; NumVGPRsForWavesPerEU: 136
; Occupancy: 7
; WaveLimiterHint : 1
; COMPUTE_PGM_RSRC2:SCRATCH_EN: 0
; COMPUTE_PGM_RSRC2:USER_SGPR: 6
; COMPUTE_PGM_RSRC2:TRAP_HANDLER: 0
; COMPUTE_PGM_RSRC2:TGID_X_EN: 1
; COMPUTE_PGM_RSRC2:TGID_Y_EN: 0
; COMPUTE_PGM_RSRC2:TGID_Z_EN: 0
; COMPUTE_PGM_RSRC2:TIDIG_COMP_CNT: 0
	.text
	.p2alignl 6, 3214868480
	.fill 48, 4, 3214868480
	.type	__hip_cuid_4c64aea5b95b455e,@object ; @__hip_cuid_4c64aea5b95b455e
	.section	.bss,"aw",@nobits
	.globl	__hip_cuid_4c64aea5b95b455e
__hip_cuid_4c64aea5b95b455e:
	.byte	0                               ; 0x0
	.size	__hip_cuid_4c64aea5b95b455e, 1

	.ident	"AMD clang version 19.0.0git (https://github.com/RadeonOpenCompute/llvm-project roc-6.4.0 25133 c7fe45cf4b819c5991fe208aaa96edf142730f1d)"
	.section	".note.GNU-stack","",@progbits
	.addrsig
	.addrsig_sym __hip_cuid_4c64aea5b95b455e
	.amdgpu_metadata
---
amdhsa.kernels:
  - .args:
      - .actual_access:  read_only
        .address_space:  global
        .offset:         0
        .size:           8
        .value_kind:     global_buffer
      - .address_space:  global
        .offset:         8
        .size:           8
        .value_kind:     global_buffer
      - .offset:         16
        .size:           8
        .value_kind:     by_value
      - .actual_access:  read_only
        .address_space:  global
        .offset:         24
        .size:           8
        .value_kind:     global_buffer
      - .actual_access:  read_only
        .address_space:  global
        .offset:         32
        .size:           8
        .value_kind:     global_buffer
      - .actual_access:  read_only
        .address_space:  global
        .offset:         40
        .size:           8
        .value_kind:     global_buffer
      - .offset:         48
        .size:           8
        .value_kind:     by_value
      - .actual_access:  read_only
        .address_space:  global
        .offset:         56
        .size:           8
        .value_kind:     global_buffer
      - .actual_access:  read_only
        .address_space:  global
        .offset:         64
        .size:           8
        .value_kind:     global_buffer
      - .offset:         72
        .size:           4
        .value_kind:     by_value
      - .actual_access:  read_only
        .address_space:  global
        .offset:         80
        .size:           8
        .value_kind:     global_buffer
      - .actual_access:  read_only
        .address_space:  global
        .offset:         88
        .size:           8
        .value_kind:     global_buffer
      - .actual_access:  read_only
        .address_space:  global
        .offset:         96
        .size:           8
        .value_kind:     global_buffer
      - .actual_access:  write_only
        .address_space:  global
        .offset:         104
        .size:           8
        .value_kind:     global_buffer
    .group_segment_fixed_size: 0
    .kernarg_segment_align: 8
    .kernarg_segment_size: 112
    .language:       OpenCL C
    .language_version:
      - 2
      - 0
    .max_flat_workgroup_size: 392
    .name:           fft_rtc_back_len280_factors_8_5_7_wgs_392_tpt_56_dp_op_CI_CI_sbcc_twdbase6_3step
    .private_segment_fixed_size: 0
    .sgpr_count:     59
    .sgpr_spill_count: 0
    .symbol:         fft_rtc_back_len280_factors_8_5_7_wgs_392_tpt_56_dp_op_CI_CI_sbcc_twdbase6_3step.kd
    .uniform_work_group_size: 1
    .uses_dynamic_stack: false
    .vgpr_count:     136
    .vgpr_spill_count: 0
    .wavefront_size: 32
    .workgroup_processor_mode: 1
amdhsa.target:   amdgcn-amd-amdhsa--gfx1030
amdhsa.version:
  - 1
  - 2
...

	.end_amdgpu_metadata
